;; amdgpu-corpus repo=zjin-lcf/HeCBench kind=compiled arch=gfx906 opt=O3
	.amdgcn_target "amdgcn-amd-amdhsa--gfx906"
	.amdhsa_code_object_version 6
	.section	.text._Z16gru_cell_forwardI6__halffiEvPT_S2_S2_S2_S2_S2_S2_T1_S3_,"axG",@progbits,_Z16gru_cell_forwardI6__halffiEvPT_S2_S2_S2_S2_S2_S2_T1_S3_,comdat
	.protected	_Z16gru_cell_forwardI6__halffiEvPT_S2_S2_S2_S2_S2_S2_T1_S3_ ; -- Begin function _Z16gru_cell_forwardI6__halffiEvPT_S2_S2_S2_S2_S2_S2_T1_S3_
	.globl	_Z16gru_cell_forwardI6__halffiEvPT_S2_S2_S2_S2_S2_S2_T1_S3_
	.p2align	8
	.type	_Z16gru_cell_forwardI6__halffiEvPT_S2_S2_S2_S2_S2_S2_T1_S3_,@function
_Z16gru_cell_forwardI6__halffiEvPT_S2_S2_S2_S2_S2_S2_T1_S3_: ; @_Z16gru_cell_forwardI6__halffiEvPT_S2_S2_S2_S2_S2_S2_T1_S3_
; %bb.0:
	s_load_dword s0, s[4:5], 0x4c
	s_load_dwordx2 s[16:17], s[4:5], 0x38
	s_waitcnt lgkmcnt(0)
	s_and_b32 s0, s0, 0xffff
	s_mul_i32 s6, s6, s0
	v_add_u32_e32 v1, s6, v0
	v_cmp_gt_i32_e32 vcc, s17, v1
	s_and_saveexec_b64 s[0:1], vcc
	s_cbranch_execz .LBB0_6
; %bb.1:
	s_load_dwordx8 s[8:15], s[4:5], 0x0
	s_load_dwordx4 s[0:3], s[4:5], 0x20
	s_load_dwordx2 s[6:7], s[4:5], 0x30
	s_abs_i32 s4, s16
	v_cvt_f32_u32_e32 v3, s4
	s_sub_i32 s5, 0, s4
	v_sub_u32_e32 v2, 0, v1
	v_max_i32_e32 v2, v1, v2
	v_rcp_iflag_f32_e32 v3, v3
	v_xor_b32_e32 v0, s16, v1
	v_ashrrev_i32_e32 v0, 31, v0
	s_ashr_i32 s17, s16, 31
	v_mul_f32_e32 v3, 0x4f7ffffe, v3
	v_cvt_u32_f32_e32 v3, v3
	v_mul_lo_u32 v4, s5, v3
	v_mul_hi_u32 v4, v3, v4
	v_add_u32_e32 v3, v3, v4
	v_mul_hi_u32 v3, v2, v3
	v_mul_lo_u32 v4, v3, s4
	v_sub_u32_e32 v2, v2, v4
	v_cmp_le_u32_e32 vcc, s4, v2
	v_add_u32_e32 v4, 1, v3
	v_cndmask_b32_e32 v3, v3, v4, vcc
	v_subrev_u32_e32 v4, s4, v2
	v_cndmask_b32_e32 v2, v2, v4, vcc
	v_cmp_le_u32_e32 vcc, s4, v2
	v_add_u32_e32 v2, 1, v3
	v_cndmask_b32_e32 v2, v3, v2, vcc
	v_xor_b32_e32 v2, v2, v0
	v_sub_u32_e32 v2, v2, v0
	v_mul_lo_u32 v4, v2, s16
	s_mul_i32 s4, s16, 3
	v_sub_u32_e32 v0, v1, v4
	v_mad_u64_u32 v[2:3], s[4:5], s4, v2, v[0:1]
	s_lshl_b64 s[4:5], s[16:17], 1
	s_add_i32 s17, s16, s16
	v_ashrrev_i32_e32 v3, 31, v2
	v_lshlrev_b64 v[11:12], 1, v[2:3]
	s_waitcnt lgkmcnt(0)
	v_mov_b32_e32 v3, s9
	v_add_co_u32_e32 v5, vcc, s8, v11
	v_add_u32_e32 v2, s17, v2
	v_addc_co_u32_e32 v6, vcc, v3, v12, vcc
	v_ashrrev_i32_e32 v3, 31, v2
	global_load_ushort v10, v[5:6], off
	v_add_co_u32_e32 v5, vcc, s4, v5
	v_mov_b32_e32 v9, s5
	v_lshlrev_b64 v[2:3], 1, v[2:3]
	v_addc_co_u32_e32 v6, vcc, v6, v9, vcc
	global_load_ushort v6, v[5:6], off
	v_add_co_u32_e32 v7, vcc, s8, v2
	v_mov_b32_e32 v5, s9
	v_addc_co_u32_e32 v8, vcc, v5, v3, vcc
	v_add_co_u32_e32 v11, vcc, s10, v11
	v_mov_b32_e32 v5, s11
	v_addc_co_u32_e32 v12, vcc, v5, v12, vcc
	global_load_ushort v13, v[11:12], off
	v_add_co_u32_e32 v11, vcc, s4, v11
	v_addc_co_u32_e32 v12, vcc, v12, v9, vcc
	v_add_co_u32_e32 v2, vcc, s10, v2
	v_addc_co_u32_e32 v3, vcc, v5, v3, vcc
	global_load_ushort v8, v[7:8], off
	s_waitcnt vmcnt(3)
	v_cvt_f32_f16_e32 v10, v10
	global_load_ushort v7, v[11:12], off
	v_mov_b32_e32 v12, s13
	global_load_ushort v11, v[2:3], off
	v_ashrrev_i32_e32 v2, 31, v1
	v_lshlrev_b64 v[2:3], 1, v[1:2]
	v_mov_b32_e32 v1, s1
	v_add_co_u32_e32 v14, vcc, s0, v2
	v_addc_co_u32_e32 v15, vcc, v1, v3, vcc
	v_ashrrev_i32_e32 v1, 31, v0
	global_load_ushort v5, v[14:15], off
	v_lshlrev_b64 v[14:15], 1, v[0:1]
	v_mov_b32_e32 v1, s13
	v_add_co_u32_e32 v16, vcc, s12, v14
	v_addc_co_u32_e32 v17, vcc, v1, v15, vcc
	global_load_ushort v20, v[16:17], off
	v_add_co_u32_e32 v16, vcc, s4, v16
	v_addc_co_u32_e32 v17, vcc, v17, v9, vcc
	global_load_ushort v1, v[16:17], off
	v_add_u32_e32 v16, s17, v0
	v_ashrrev_i32_e32 v17, 31, v16
	v_lshlrev_b64 v[16:17], 1, v[16:17]
	s_waitcnt vmcnt(6)
	v_cvt_f32_f16_e32 v13, v13
	v_add_co_u32_e32 v18, vcc, s12, v16
	v_addc_co_u32_e32 v19, vcc, v12, v17, vcc
	global_load_ushort v12, v[18:19], off
	v_add_co_u32_e32 v14, vcc, s14, v14
	v_mov_b32_e32 v18, s15
	v_addc_co_u32_e32 v15, vcc, v18, v15, vcc
	global_load_ushort v18, v[14:15], off
	v_add_co_u32_e32 v14, vcc, s4, v14
	v_addc_co_u32_e32 v15, vcc, v15, v9, vcc
	global_load_ushort v9, v[14:15], off
	v_add_co_u32_e32 v14, vcc, s14, v16
	v_mov_b32_e32 v15, s15
	v_add_f32_e32 v10, v10, v13
	v_addc_co_u32_e32 v15, vcc, v15, v17, vcc
	global_load_ushort v15, v[14:15], off
	s_mov_b32 s0, 0xbfb8aa3b
	s_waitcnt vmcnt(9)
	v_cvt_f32_f16_e32 v8, v8
	s_waitcnt vmcnt(5)
	v_cvt_f32_f16_e32 v13, v20
	v_add_f32_e32 v10, v10, v13
	s_waitcnt vmcnt(2)
	v_cvt_f32_f16_e32 v13, v18
	v_add_f32_e32 v10, v10, v13
	v_mul_f32_e32 v13, 0xbfb8aa3b, v10
	v_fma_f32 v14, v10, s0, -v13
	v_rndne_f32_e32 v16, v13
	v_fmac_f32_e32 v14, 0xb2a5705f, v10
	v_sub_f32_e32 v13, v13, v16
	v_add_f32_e32 v13, v13, v14
	v_exp_f32_e32 v13, v13
	v_cvt_i32_f32_e32 v14, v16
	s_mov_b32 s0, 0x42ce8ed0
	v_cmp_nlt_f32_e32 vcc, s0, v10
	s_mov_b32 s0, 0xc2b17218
	v_ldexp_f32 v13, v13, v14
	v_cndmask_b32_e32 v13, 0, v13, vcc
	v_cmp_ngt_f32_e32 vcc, s0, v10
	v_mov_b32_e32 v14, 0x7f800000
	v_cndmask_b32_e32 v10, v14, v13, vcc
	v_add_f32_e32 v10, 1.0, v10
	v_div_scale_f32 v13, s[0:1], v10, v10, 1.0
	s_mov_b32 s0, 0x3f200000
	v_rcp_f32_e32 v16, v13
	v_fma_f32 v17, -v13, v16, 1.0
	v_fmac_f32_e32 v16, v17, v16
	v_div_scale_f32 v17, vcc, 1.0, v10, 1.0
	v_mul_f32_e32 v18, v17, v16
	v_fma_f32 v19, -v13, v18, v17
	v_fmac_f32_e32 v18, v19, v16
	v_fma_f32 v13, -v13, v18, v17
	v_div_fmas_f32 v13, v13, v16, v18
	v_div_fixup_f32 v13, v13, v10, 1.0
	v_cvt_f32_f16_e32 v10, v12
	v_add_f32_e32 v10, v8, v10
	v_cvt_f32_f16_e32 v8, v11
	s_waitcnt vmcnt(0)
	v_cvt_f32_f16_e32 v11, v15
	v_add_f32_e32 v8, v8, v11
	v_fmac_f32_e32 v10, v8, v13
	v_cmp_nlt_f32_e64 s[0:1], |v10|, s0
                                        ; implicit-def: $vgpr11
	s_and_saveexec_b64 s[8:9], s[0:1]
	s_xor_b64 s[0:1], exec, s[8:9]
	s_cbranch_execz .LBB0_3
; %bb.2:
	v_add_f32_e64 v11, |v10|, |v10|
	v_mul_f32_e32 v12, 0x3fb8aa3b, v11
	s_mov_b32 s8, 0x3fb8aa3b
	v_rndne_f32_e32 v15, v12
	v_sub_f32_e32 v16, v12, v15
	v_fma_f32 v12, v11, s8, -v12
	v_fmac_f32_e32 v12, 0x32a5705f, v11
	v_add_f32_e32 v12, v16, v12
	v_exp_f32_e32 v12, v12
	v_cvt_i32_f32_e32 v15, v15
	s_mov_b32 s8, 0xc2ce8ed0
	v_cmp_ngt_f32_e32 vcc, s8, v11
	s_mov_b32 s8, 0x42b17218
	v_ldexp_f32 v12, v12, v15
	v_cndmask_b32_e32 v12, 0, v12, vcc
	v_cmp_nlt_f32_e32 vcc, s8, v11
	v_cndmask_b32_e32 v11, v14, v12, vcc
	v_add_f32_e32 v11, 1.0, v11
	v_rcp_f32_e32 v11, v11
	v_fma_f32 v11, v11, -2.0, 1.0
.LBB0_3:
	s_andn2_saveexec_b64 s[0:1], s[0:1]
	s_cbranch_execz .LBB0_5
; %bb.4:
	v_mul_f32_e32 v11, v10, v10
	v_mov_b32_e32 v12, 0x3ca908c9
	v_fmac_f32_e32 v12, 0xbbbac73d, v11
	v_mov_b32_e32 v14, 0xbd5c1c4e
	v_fmac_f32_e32 v14, v11, v12
	;; [unrolled: 2-line block ×4, first 2 shown]
	v_mul_f32_e64 v12, |v10|, v14
	v_fma_f32 v11, v11, v12, |v10|
.LBB0_5:
	s_or_b64 exec, exec, s[0:1]
	v_cvt_f32_f16_e32 v6, v6
	v_cvt_f32_f16_e32 v7, v7
	;; [unrolled: 1-line block ×4, first 2 shown]
	s_mov_b32 s0, 0xbfb8aa3b
	v_add_f32_e32 v6, v6, v7
	v_add_f32_e32 v1, v6, v1
	;; [unrolled: 1-line block ×3, first 2 shown]
	v_mul_f32_e32 v6, 0xbfb8aa3b, v1
	v_fma_f32 v7, v1, s0, -v6
	v_rndne_f32_e32 v9, v6
	v_fmac_f32_e32 v7, 0xb2a5705f, v1
	v_sub_f32_e32 v6, v6, v9
	v_add_f32_e32 v6, v6, v7
	v_exp_f32_e32 v6, v6
	v_cvt_i32_f32_e32 v7, v9
	s_mov_b32 s0, 0x42ce8ed0
	v_cmp_nlt_f32_e32 vcc, s0, v1
	s_mov_b32 s0, 0xc2b17218
	v_ldexp_f32 v6, v6, v7
	v_cndmask_b32_e32 v6, 0, v6, vcc
	v_mov_b32_e32 v7, 0x7f800000
	v_cmp_ngt_f32_e32 vcc, s0, v1
	v_cndmask_b32_e32 v1, v7, v6, vcc
	v_add_f32_e32 v9, 1.0, v1
	v_div_scale_f32 v6, s[0:1], v9, v9, 1.0
	v_div_scale_f32 v7, vcc, 1.0, v9, 1.0
	v_mad_u64_u32 v[0:1], s[0:1], v4, 5, v[0:1]
	v_cvt_f32_f16_e32 v4, v5
	v_mov_b32_e32 v12, s3
	s_brev_b32 s0, -2
	v_cvt_f16_f32_e32 v13, v13
	v_bfi_b32 v10, s0, v11, v10
	v_sub_f32_e32 v4, v4, v10
	v_mov_b32_e32 v16, s5
	v_rcp_f32_e32 v1, v6
	v_fma_f32 v14, -v6, v1, 1.0
	v_fmac_f32_e32 v1, v14, v1
	v_mul_f32_e32 v14, v7, v1
	v_fma_f32 v15, -v6, v14, v7
	v_fmac_f32_e32 v14, v15, v1
	v_fma_f32 v6, -v6, v14, v7
	v_div_fmas_f32 v14, v6, v1, v14
	v_ashrrev_i32_e32 v1, 31, v0
	v_add_co_u32_e32 v2, vcc, s2, v2
	v_lshlrev_b64 v[6:7], 1, v[0:1]
	v_addc_co_u32_e32 v3, vcc, v12, v3, vcc
	v_mov_b32_e32 v15, s7
	v_add_co_u32_e32 v6, vcc, s6, v6
	v_addc_co_u32_e32 v7, vcc, v15, v7, vcc
	v_add_u32_e32 v0, s17, v0
	global_store_short v[6:7], v13, off
	v_div_fixup_f32 v1, v14, v9, 1.0
	v_cvt_f16_f32_e32 v9, v1
	v_fma_mixlo_f16 v4, v1, v4, v10
	v_add_co_u32_e32 v1, vcc, s4, v6
	global_store_short v[2:3], v4, off
	v_addc_co_u32_e32 v2, vcc, v7, v16, vcc
	global_store_short v[1:2], v9, off
	v_ashrrev_i32_e32 v1, 31, v0
	v_cvt_f16_f32_e32 v3, v10
	v_lshlrev_b64 v[1:2], 1, v[0:1]
	v_mov_b32_e32 v4, s7
	v_add_co_u32_e32 v1, vcc, s6, v1
	v_addc_co_u32_e32 v2, vcc, v4, v2, vcc
	v_add_u32_e32 v0, s16, v0
	global_store_short v[1:2], v3, off
	v_ashrrev_i32_e32 v1, 31, v0
	v_lshlrev_b64 v[1:2], 1, v[0:1]
	v_mov_b32_e32 v3, s7
	v_add_co_u32_e32 v1, vcc, s6, v1
	v_addc_co_u32_e32 v2, vcc, v3, v2, vcc
	v_add_u32_e32 v0, s16, v0
	global_store_short v[1:2], v5, off
	v_ashrrev_i32_e32 v1, 31, v0
	v_cvt_f16_f32_e32 v2, v8
	v_lshlrev_b64 v[0:1], 1, v[0:1]
	v_add_co_u32_e32 v0, vcc, s6, v0
	v_addc_co_u32_e32 v1, vcc, v3, v1, vcc
	global_store_short v[0:1], v2, off
.LBB0_6:
	s_endpgm
	.section	.rodata,"a",@progbits
	.p2align	6, 0x0
	.amdhsa_kernel _Z16gru_cell_forwardI6__halffiEvPT_S2_S2_S2_S2_S2_S2_T1_S3_
		.amdhsa_group_segment_fixed_size 0
		.amdhsa_private_segment_fixed_size 0
		.amdhsa_kernarg_size 320
		.amdhsa_user_sgpr_count 6
		.amdhsa_user_sgpr_private_segment_buffer 1
		.amdhsa_user_sgpr_dispatch_ptr 0
		.amdhsa_user_sgpr_queue_ptr 0
		.amdhsa_user_sgpr_kernarg_segment_ptr 1
		.amdhsa_user_sgpr_dispatch_id 0
		.amdhsa_user_sgpr_flat_scratch_init 0
		.amdhsa_user_sgpr_private_segment_size 0
		.amdhsa_uses_dynamic_stack 0
		.amdhsa_system_sgpr_private_segment_wavefront_offset 0
		.amdhsa_system_sgpr_workgroup_id_x 1
		.amdhsa_system_sgpr_workgroup_id_y 0
		.amdhsa_system_sgpr_workgroup_id_z 0
		.amdhsa_system_sgpr_workgroup_info 0
		.amdhsa_system_vgpr_workitem_id 0
		.amdhsa_next_free_vgpr 21
		.amdhsa_next_free_sgpr 18
		.amdhsa_reserve_vcc 1
		.amdhsa_reserve_flat_scratch 0
		.amdhsa_float_round_mode_32 0
		.amdhsa_float_round_mode_16_64 0
		.amdhsa_float_denorm_mode_32 3
		.amdhsa_float_denorm_mode_16_64 3
		.amdhsa_dx10_clamp 1
		.amdhsa_ieee_mode 1
		.amdhsa_fp16_overflow 0
		.amdhsa_exception_fp_ieee_invalid_op 0
		.amdhsa_exception_fp_denorm_src 0
		.amdhsa_exception_fp_ieee_div_zero 0
		.amdhsa_exception_fp_ieee_overflow 0
		.amdhsa_exception_fp_ieee_underflow 0
		.amdhsa_exception_fp_ieee_inexact 0
		.amdhsa_exception_int_div_zero 0
	.end_amdhsa_kernel
	.section	.text._Z16gru_cell_forwardI6__halffiEvPT_S2_S2_S2_S2_S2_S2_T1_S3_,"axG",@progbits,_Z16gru_cell_forwardI6__halffiEvPT_S2_S2_S2_S2_S2_S2_T1_S3_,comdat
.Lfunc_end0:
	.size	_Z16gru_cell_forwardI6__halffiEvPT_S2_S2_S2_S2_S2_S2_T1_S3_, .Lfunc_end0-_Z16gru_cell_forwardI6__halffiEvPT_S2_S2_S2_S2_S2_S2_T1_S3_
                                        ; -- End function
	.set _Z16gru_cell_forwardI6__halffiEvPT_S2_S2_S2_S2_S2_S2_T1_S3_.num_vgpr, 21
	.set _Z16gru_cell_forwardI6__halffiEvPT_S2_S2_S2_S2_S2_S2_T1_S3_.num_agpr, 0
	.set _Z16gru_cell_forwardI6__halffiEvPT_S2_S2_S2_S2_S2_S2_T1_S3_.numbered_sgpr, 18
	.set _Z16gru_cell_forwardI6__halffiEvPT_S2_S2_S2_S2_S2_S2_T1_S3_.num_named_barrier, 0
	.set _Z16gru_cell_forwardI6__halffiEvPT_S2_S2_S2_S2_S2_S2_T1_S3_.private_seg_size, 0
	.set _Z16gru_cell_forwardI6__halffiEvPT_S2_S2_S2_S2_S2_S2_T1_S3_.uses_vcc, 1
	.set _Z16gru_cell_forwardI6__halffiEvPT_S2_S2_S2_S2_S2_S2_T1_S3_.uses_flat_scratch, 0
	.set _Z16gru_cell_forwardI6__halffiEvPT_S2_S2_S2_S2_S2_S2_T1_S3_.has_dyn_sized_stack, 0
	.set _Z16gru_cell_forwardI6__halffiEvPT_S2_S2_S2_S2_S2_S2_T1_S3_.has_recursion, 0
	.set _Z16gru_cell_forwardI6__halffiEvPT_S2_S2_S2_S2_S2_S2_T1_S3_.has_indirect_call, 0
	.section	.AMDGPU.csdata,"",@progbits
; Kernel info:
; codeLenInByte = 1468
; TotalNumSgprs: 22
; NumVgprs: 21
; ScratchSize: 0
; MemoryBound: 0
; FloatMode: 240
; IeeeMode: 1
; LDSByteSize: 0 bytes/workgroup (compile time only)
; SGPRBlocks: 2
; VGPRBlocks: 5
; NumSGPRsForWavesPerEU: 22
; NumVGPRsForWavesPerEU: 21
; Occupancy: 10
; WaveLimiterHint : 0
; COMPUTE_PGM_RSRC2:SCRATCH_EN: 0
; COMPUTE_PGM_RSRC2:USER_SGPR: 6
; COMPUTE_PGM_RSRC2:TRAP_HANDLER: 0
; COMPUTE_PGM_RSRC2:TGID_X_EN: 1
; COMPUTE_PGM_RSRC2:TGID_Y_EN: 0
; COMPUTE_PGM_RSRC2:TGID_Z_EN: 0
; COMPUTE_PGM_RSRC2:TIDIG_COMP_CNT: 0
	.section	.AMDGPU.gpr_maximums,"",@progbits
	.set amdgpu.max_num_vgpr, 0
	.set amdgpu.max_num_agpr, 0
	.set amdgpu.max_num_sgpr, 0
	.section	.AMDGPU.csdata,"",@progbits
	.type	__hip_cuid_e3b9e234362f7963,@object ; @__hip_cuid_e3b9e234362f7963
	.section	.bss,"aw",@nobits
	.globl	__hip_cuid_e3b9e234362f7963
__hip_cuid_e3b9e234362f7963:
	.byte	0                               ; 0x0
	.size	__hip_cuid_e3b9e234362f7963, 1

	.ident	"AMD clang version 22.0.0git (https://github.com/RadeonOpenCompute/llvm-project roc-7.2.4 26084 f58b06dce1f9c15707c5f808fd002e18c2accf7e)"
	.section	".note.GNU-stack","",@progbits
	.addrsig
	.addrsig_sym __hip_cuid_e3b9e234362f7963
	.amdgpu_metadata
---
amdhsa.kernels:
  - .args:
      - .actual_access:  read_only
        .address_space:  global
        .offset:         0
        .size:           8
        .value_kind:     global_buffer
      - .actual_access:  read_only
        .address_space:  global
        .offset:         8
        .size:           8
        .value_kind:     global_buffer
      - .actual_access:  read_only
        .address_space:  global
        .offset:         16
        .size:           8
        .value_kind:     global_buffer
      - .actual_access:  read_only
        .address_space:  global
        .offset:         24
        .size:           8
        .value_kind:     global_buffer
      - .actual_access:  read_only
        .address_space:  global
        .offset:         32
        .size:           8
        .value_kind:     global_buffer
      - .actual_access:  write_only
        .address_space:  global
        .offset:         40
        .size:           8
        .value_kind:     global_buffer
      - .actual_access:  write_only
        .address_space:  global
        .offset:         48
        .size:           8
        .value_kind:     global_buffer
      - .offset:         56
        .size:           4
        .value_kind:     by_value
      - .offset:         60
        .size:           4
        .value_kind:     by_value
      - .offset:         64
        .size:           4
        .value_kind:     hidden_block_count_x
      - .offset:         68
        .size:           4
        .value_kind:     hidden_block_count_y
      - .offset:         72
        .size:           4
        .value_kind:     hidden_block_count_z
      - .offset:         76
        .size:           2
        .value_kind:     hidden_group_size_x
      - .offset:         78
        .size:           2
        .value_kind:     hidden_group_size_y
      - .offset:         80
        .size:           2
        .value_kind:     hidden_group_size_z
      - .offset:         82
        .size:           2
        .value_kind:     hidden_remainder_x
      - .offset:         84
        .size:           2
        .value_kind:     hidden_remainder_y
      - .offset:         86
        .size:           2
        .value_kind:     hidden_remainder_z
      - .offset:         104
        .size:           8
        .value_kind:     hidden_global_offset_x
      - .offset:         112
        .size:           8
        .value_kind:     hidden_global_offset_y
      - .offset:         120
        .size:           8
        .value_kind:     hidden_global_offset_z
      - .offset:         128
        .size:           2
        .value_kind:     hidden_grid_dims
    .group_segment_fixed_size: 0
    .kernarg_segment_align: 8
    .kernarg_segment_size: 320
    .language:       OpenCL C
    .language_version:
      - 2
      - 0
    .max_flat_workgroup_size: 1024
    .name:           _Z16gru_cell_forwardI6__halffiEvPT_S2_S2_S2_S2_S2_S2_T1_S3_
    .private_segment_fixed_size: 0
    .sgpr_count:     22
    .sgpr_spill_count: 0
    .symbol:         _Z16gru_cell_forwardI6__halffiEvPT_S2_S2_S2_S2_S2_S2_T1_S3_.kd
    .uniform_work_group_size: 1
    .uses_dynamic_stack: false
    .vgpr_count:     21
    .vgpr_spill_count: 0
    .wavefront_size: 64
amdhsa.target:   amdgcn-amd-amdhsa--gfx906
amdhsa.version:
  - 1
  - 2
...

	.end_amdgpu_metadata
